;; amdgpu-corpus repo=ROCm/rocFFT kind=compiled arch=gfx1030 opt=O3
	.text
	.amdgcn_target "amdgcn-amd-amdhsa--gfx1030"
	.amdhsa_code_object_version 6
	.protected	fft_rtc_back_len2592_factors_6_6_6_6_2_wgs_216_tpt_216_halfLds_dp_op_CI_CI_sbrr_dirReg ; -- Begin function fft_rtc_back_len2592_factors_6_6_6_6_2_wgs_216_tpt_216_halfLds_dp_op_CI_CI_sbrr_dirReg
	.globl	fft_rtc_back_len2592_factors_6_6_6_6_2_wgs_216_tpt_216_halfLds_dp_op_CI_CI_sbrr_dirReg
	.p2align	8
	.type	fft_rtc_back_len2592_factors_6_6_6_6_2_wgs_216_tpt_216_halfLds_dp_op_CI_CI_sbrr_dirReg,@function
fft_rtc_back_len2592_factors_6_6_6_6_2_wgs_216_tpt_216_halfLds_dp_op_CI_CI_sbrr_dirReg: ; @fft_rtc_back_len2592_factors_6_6_6_6_2_wgs_216_tpt_216_halfLds_dp_op_CI_CI_sbrr_dirReg
; %bb.0:
	s_clause 0x2
	s_load_dwordx4 s[16:19], s[4:5], 0x18
	s_load_dwordx4 s[12:15], s[4:5], 0x0
	;; [unrolled: 1-line block ×3, first 2 shown]
	v_mul_u32_u24_e32 v2, 0x130, v0
	v_mov_b32_e32 v1, 0
	v_mov_b32_e32 v4, 0
	;; [unrolled: 1-line block ×3, first 2 shown]
	s_waitcnt lgkmcnt(0)
	s_load_dwordx2 s[20:21], s[16:17], 0x0
	s_load_dwordx2 s[2:3], s[18:19], 0x0
	v_cmp_lt_u64_e64 s0, s[14:15], 2
	v_add_nc_u32_sdwa v6, s6, v2 dst_sel:DWORD dst_unused:UNUSED_PAD src0_sel:DWORD src1_sel:WORD_1
	v_mov_b32_e32 v7, v1
	s_and_b32 vcc_lo, exec_lo, s0
	s_cbranch_vccnz .LBB0_8
; %bb.1:
	s_load_dwordx2 s[0:1], s[4:5], 0x10
	v_mov_b32_e32 v4, 0
	v_mov_b32_e32 v5, 0
	s_add_u32 s6, s18, 8
	s_addc_u32 s7, s19, 0
	s_add_u32 s22, s16, 8
	s_addc_u32 s23, s17, 0
	v_mov_b32_e32 v49, v5
	v_mov_b32_e32 v48, v4
	s_mov_b64 s[26:27], 1
	s_waitcnt lgkmcnt(0)
	s_add_u32 s24, s0, 8
	s_addc_u32 s25, s1, 0
.LBB0_2:                                ; =>This Inner Loop Header: Depth=1
	s_load_dwordx2 s[28:29], s[24:25], 0x0
                                        ; implicit-def: $vgpr52_vgpr53
	s_mov_b32 s0, exec_lo
	s_waitcnt lgkmcnt(0)
	v_or_b32_e32 v2, s29, v7
	v_cmpx_ne_u64_e32 0, v[1:2]
	s_xor_b32 s1, exec_lo, s0
	s_cbranch_execz .LBB0_4
; %bb.3:                                ;   in Loop: Header=BB0_2 Depth=1
	v_cvt_f32_u32_e32 v2, s28
	v_cvt_f32_u32_e32 v3, s29
	s_sub_u32 s0, 0, s28
	s_subb_u32 s30, 0, s29
	v_fmac_f32_e32 v2, 0x4f800000, v3
	v_rcp_f32_e32 v2, v2
	v_mul_f32_e32 v2, 0x5f7ffffc, v2
	v_mul_f32_e32 v3, 0x2f800000, v2
	v_trunc_f32_e32 v3, v3
	v_fmac_f32_e32 v2, 0xcf800000, v3
	v_cvt_u32_f32_e32 v3, v3
	v_cvt_u32_f32_e32 v2, v2
	v_mul_lo_u32 v8, s0, v3
	v_mul_hi_u32 v9, s0, v2
	v_mul_lo_u32 v10, s30, v2
	v_add_nc_u32_e32 v8, v9, v8
	v_mul_lo_u32 v9, s0, v2
	v_add_nc_u32_e32 v8, v8, v10
	v_mul_hi_u32 v10, v2, v9
	v_mul_lo_u32 v11, v2, v8
	v_mul_hi_u32 v12, v2, v8
	v_mul_hi_u32 v13, v3, v9
	v_mul_lo_u32 v9, v3, v9
	v_mul_hi_u32 v14, v3, v8
	v_mul_lo_u32 v8, v3, v8
	v_add_co_u32 v10, vcc_lo, v10, v11
	v_add_co_ci_u32_e32 v11, vcc_lo, 0, v12, vcc_lo
	v_add_co_u32 v9, vcc_lo, v10, v9
	v_add_co_ci_u32_e32 v9, vcc_lo, v11, v13, vcc_lo
	v_add_co_ci_u32_e32 v10, vcc_lo, 0, v14, vcc_lo
	v_add_co_u32 v8, vcc_lo, v9, v8
	v_add_co_ci_u32_e32 v9, vcc_lo, 0, v10, vcc_lo
	v_add_co_u32 v2, vcc_lo, v2, v8
	v_add_co_ci_u32_e32 v3, vcc_lo, v3, v9, vcc_lo
	v_mul_hi_u32 v8, s0, v2
	v_mul_lo_u32 v10, s30, v2
	v_mul_lo_u32 v9, s0, v3
	v_add_nc_u32_e32 v8, v8, v9
	v_mul_lo_u32 v9, s0, v2
	v_add_nc_u32_e32 v8, v8, v10
	v_mul_hi_u32 v10, v2, v9
	v_mul_lo_u32 v11, v2, v8
	v_mul_hi_u32 v12, v2, v8
	v_mul_hi_u32 v13, v3, v9
	v_mul_lo_u32 v9, v3, v9
	v_mul_hi_u32 v14, v3, v8
	v_mul_lo_u32 v8, v3, v8
	v_add_co_u32 v10, vcc_lo, v10, v11
	v_add_co_ci_u32_e32 v11, vcc_lo, 0, v12, vcc_lo
	v_add_co_u32 v9, vcc_lo, v10, v9
	v_add_co_ci_u32_e32 v9, vcc_lo, v11, v13, vcc_lo
	v_add_co_ci_u32_e32 v10, vcc_lo, 0, v14, vcc_lo
	v_add_co_u32 v8, vcc_lo, v9, v8
	v_add_co_ci_u32_e32 v9, vcc_lo, 0, v10, vcc_lo
	v_add_co_u32 v8, vcc_lo, v2, v8
	v_add_co_ci_u32_e32 v10, vcc_lo, v3, v9, vcc_lo
	v_mul_hi_u32 v12, v6, v8
	v_mad_u64_u32 v[8:9], null, v7, v8, 0
	v_mad_u64_u32 v[2:3], null, v6, v10, 0
	v_mad_u64_u32 v[10:11], null, v7, v10, 0
	v_add_co_u32 v2, vcc_lo, v12, v2
	v_add_co_ci_u32_e32 v3, vcc_lo, 0, v3, vcc_lo
	v_add_co_u32 v2, vcc_lo, v2, v8
	v_add_co_ci_u32_e32 v2, vcc_lo, v3, v9, vcc_lo
	v_add_co_ci_u32_e32 v3, vcc_lo, 0, v11, vcc_lo
	v_add_co_u32 v8, vcc_lo, v2, v10
	v_add_co_ci_u32_e32 v9, vcc_lo, 0, v3, vcc_lo
	v_mul_lo_u32 v10, s29, v8
	v_mad_u64_u32 v[2:3], null, s28, v8, 0
	v_mul_lo_u32 v11, s28, v9
	v_sub_co_u32 v2, vcc_lo, v6, v2
	v_add3_u32 v3, v3, v11, v10
	v_sub_nc_u32_e32 v10, v7, v3
	v_subrev_co_ci_u32_e64 v10, s0, s29, v10, vcc_lo
	v_add_co_u32 v11, s0, v8, 2
	v_add_co_ci_u32_e64 v12, s0, 0, v9, s0
	v_sub_co_u32 v13, s0, v2, s28
	v_sub_co_ci_u32_e32 v3, vcc_lo, v7, v3, vcc_lo
	v_subrev_co_ci_u32_e64 v10, s0, 0, v10, s0
	v_cmp_le_u32_e32 vcc_lo, s28, v13
	v_cmp_eq_u32_e64 s0, s29, v3
	v_cndmask_b32_e64 v13, 0, -1, vcc_lo
	v_cmp_le_u32_e32 vcc_lo, s29, v10
	v_cndmask_b32_e64 v14, 0, -1, vcc_lo
	v_cmp_le_u32_e32 vcc_lo, s28, v2
	;; [unrolled: 2-line block ×3, first 2 shown]
	v_cndmask_b32_e64 v15, 0, -1, vcc_lo
	v_cmp_eq_u32_e32 vcc_lo, s29, v10
	v_cndmask_b32_e64 v2, v15, v2, s0
	v_cndmask_b32_e32 v10, v14, v13, vcc_lo
	v_add_co_u32 v13, vcc_lo, v8, 1
	v_add_co_ci_u32_e32 v14, vcc_lo, 0, v9, vcc_lo
	v_cmp_ne_u32_e32 vcc_lo, 0, v10
	v_cndmask_b32_e32 v3, v14, v12, vcc_lo
	v_cndmask_b32_e32 v10, v13, v11, vcc_lo
	v_cmp_ne_u32_e32 vcc_lo, 0, v2
	v_cndmask_b32_e32 v53, v9, v3, vcc_lo
	v_cndmask_b32_e32 v52, v8, v10, vcc_lo
.LBB0_4:                                ;   in Loop: Header=BB0_2 Depth=1
	s_andn2_saveexec_b32 s0, s1
	s_cbranch_execz .LBB0_6
; %bb.5:                                ;   in Loop: Header=BB0_2 Depth=1
	v_cvt_f32_u32_e32 v2, s28
	s_sub_i32 s1, 0, s28
	v_mov_b32_e32 v53, v1
	v_rcp_iflag_f32_e32 v2, v2
	v_mul_f32_e32 v2, 0x4f7ffffe, v2
	v_cvt_u32_f32_e32 v2, v2
	v_mul_lo_u32 v3, s1, v2
	v_mul_hi_u32 v3, v2, v3
	v_add_nc_u32_e32 v2, v2, v3
	v_mul_hi_u32 v2, v6, v2
	v_mul_lo_u32 v3, v2, s28
	v_add_nc_u32_e32 v8, 1, v2
	v_sub_nc_u32_e32 v3, v6, v3
	v_subrev_nc_u32_e32 v9, s28, v3
	v_cmp_le_u32_e32 vcc_lo, s28, v3
	v_cndmask_b32_e32 v3, v3, v9, vcc_lo
	v_cndmask_b32_e32 v2, v2, v8, vcc_lo
	v_cmp_le_u32_e32 vcc_lo, s28, v3
	v_add_nc_u32_e32 v8, 1, v2
	v_cndmask_b32_e32 v52, v2, v8, vcc_lo
.LBB0_6:                                ;   in Loop: Header=BB0_2 Depth=1
	s_or_b32 exec_lo, exec_lo, s0
	v_mul_lo_u32 v8, v53, s28
	v_mul_lo_u32 v9, v52, s29
	s_load_dwordx2 s[0:1], s[22:23], 0x0
	v_mad_u64_u32 v[2:3], null, v52, s28, 0
	s_load_dwordx2 s[28:29], s[6:7], 0x0
	s_add_u32 s26, s26, 1
	s_addc_u32 s27, s27, 0
	s_add_u32 s6, s6, 8
	s_addc_u32 s7, s7, 0
	s_add_u32 s22, s22, 8
	v_add3_u32 v3, v3, v9, v8
	v_sub_co_u32 v2, vcc_lo, v6, v2
	s_addc_u32 s23, s23, 0
	s_add_u32 s24, s24, 8
	v_sub_co_ci_u32_e32 v3, vcc_lo, v7, v3, vcc_lo
	s_addc_u32 s25, s25, 0
	s_waitcnt lgkmcnt(0)
	v_mul_lo_u32 v6, s0, v3
	v_mul_lo_u32 v7, s1, v2
	v_mad_u64_u32 v[4:5], null, s0, v2, v[4:5]
	v_mul_lo_u32 v3, s28, v3
	v_mul_lo_u32 v8, s29, v2
	v_mad_u64_u32 v[48:49], null, s28, v2, v[48:49]
	v_cmp_ge_u64_e64 s0, s[26:27], s[14:15]
	v_add3_u32 v5, v7, v5, v6
	v_add3_u32 v49, v8, v49, v3
	s_and_b32 vcc_lo, exec_lo, s0
	s_cbranch_vccnz .LBB0_9
; %bb.7:                                ;   in Loop: Header=BB0_2 Depth=1
	v_mov_b32_e32 v6, v52
	v_mov_b32_e32 v7, v53
	s_branch .LBB0_2
.LBB0_8:
	v_mov_b32_e32 v49, v5
	v_mov_b32_e32 v53, v7
	;; [unrolled: 1-line block ×4, first 2 shown]
.LBB0_9:
	s_load_dwordx2 s[0:1], s[4:5], 0x28
	v_mul_hi_u32 v1, 0x12f684c, v0
	s_lshl_b64 s[6:7], s[14:15], 3
                                        ; implicit-def: $vgpr50
                                        ; implicit-def: $vgpr56
                                        ; implicit-def: $vgpr54
                                        ; implicit-def: $vgpr59
                                        ; implicit-def: $vgpr58
                                        ; implicit-def: $vgpr61
	s_add_u32 s4, s18, s6
	s_addc_u32 s5, s19, s7
	s_waitcnt lgkmcnt(0)
	v_cmp_gt_u64_e32 vcc_lo, s[0:1], v[52:53]
	v_cmp_le_u64_e64 s0, s[0:1], v[52:53]
	s_and_saveexec_b32 s1, s0
	s_xor_b32 s0, exec_lo, s1
; %bb.10:
	v_mul_u32_u24_e32 v1, 0xd8, v1
                                        ; implicit-def: $vgpr4_vgpr5
	v_sub_nc_u32_e32 v50, v0, v1
                                        ; implicit-def: $vgpr1
                                        ; implicit-def: $vgpr0
	v_add_nc_u32_e32 v56, 0xd8, v50
	v_add_nc_u32_e32 v54, 0x1b0, v50
	;; [unrolled: 1-line block ×5, first 2 shown]
; %bb.11:
	s_or_saveexec_b32 s14, s0
                                        ; implicit-def: $vgpr22_vgpr23
                                        ; implicit-def: $vgpr18_vgpr19
                                        ; implicit-def: $vgpr42_vgpr43
                                        ; implicit-def: $vgpr46_vgpr47
                                        ; implicit-def: $vgpr38_vgpr39
                                        ; implicit-def: $vgpr34_vgpr35
                                        ; implicit-def: $vgpr6_vgpr7
                                        ; implicit-def: $vgpr10_vgpr11
                                        ; implicit-def: $vgpr26_vgpr27
                                        ; implicit-def: $vgpr30_vgpr31
                                        ; implicit-def: $vgpr14_vgpr15
                                        ; implicit-def: $vgpr2_vgpr3
	s_xor_b32 exec_lo, exec_lo, s14
	s_cbranch_execz .LBB0_13
; %bb.12:
	s_add_u32 s0, s16, s6
	s_addc_u32 s1, s17, s7
	v_mul_u32_u24_e32 v1, 0xd8, v1
	s_load_dwordx2 s[0:1], s[0:1], 0x0
	v_lshlrev_b64 v[4:5], 4, v[4:5]
	v_sub_nc_u32_e32 v50, v0, v1
	v_add_nc_u32_e32 v54, 0x1b0, v50
	v_mad_u64_u32 v[0:1], null, s20, v50, 0
	v_add_nc_u32_e32 v59, 0x360, v50
	v_add_nc_u32_e32 v15, 0x510, v50
	v_mad_u64_u32 v[2:3], null, s20, v54, 0
	v_add_nc_u32_e32 v20, 0x6c0, v50
	v_mad_u64_u32 v[6:7], null, s20, v59, 0
	v_mad_u64_u32 v[10:11], null, s20, v15, 0
	s_waitcnt lgkmcnt(0)
	v_mul_lo_u32 v14, s1, v52
	v_mul_lo_u32 v18, s0, v53
	v_mad_u64_u32 v[8:9], null, s0, v52, 0
	v_mad_u64_u32 v[12:13], null, s21, v50, v[1:2]
	;; [unrolled: 1-line block ×3, first 2 shown]
	v_add_nc_u32_e32 v21, 0x870, v50
	v_add_nc_u32_e32 v56, 0xd8, v50
	v_add3_u32 v9, v9, v18, v14
	v_add_nc_u32_e32 v58, 0x288, v50
	v_mov_b32_e32 v1, v12
	v_mad_u64_u32 v[12:13], null, s21, v54, v[3:4]
	v_lshlrev_b64 v[8:9], 4, v[8:9]
	v_mad_u64_u32 v[18:19], null, s20, v21, 0
	v_lshlrev_b64 v[0:1], 4, v[0:1]
	v_add_nc_u32_e32 v61, 0x438, v50
	v_add_nc_u32_e32 v36, 0x5e8, v50
	v_mad_u64_u32 v[13:14], null, s21, v59, v[7:8]
	v_add_co_u32 v7, s0, s8, v8
	v_add_co_ci_u32_e64 v8, s0, s9, v9, s0
	v_mov_b32_e32 v3, v12
	v_add_co_u32 v39, s0, v7, v4
	v_add_co_ci_u32_e64 v42, s0, v8, v5, s0
	v_lshlrev_b64 v[2:3], 4, v[2:3]
	v_mad_u64_u32 v[8:9], null, s21, v15, v[11:12]
	v_add_co_u32 v0, s0, v39, v0
	v_add_co_ci_u32_e64 v1, s0, v42, v1, s0
	v_add_co_u32 v4, s0, v39, v2
	v_mov_b32_e32 v7, v13
	v_mov_b32_e32 v9, v17
	v_add_co_ci_u32_e64 v5, s0, v42, v3, s0
	v_mov_b32_e32 v11, v8
	s_clause 0x1
	global_load_dwordx4 v[0:3], v[0:1], off
	global_load_dwordx4 v[12:15], v[4:5], off
	v_lshlrev_b64 v[4:5], 4, v[6:7]
	v_mad_u64_u32 v[6:7], null, s21, v20, v[9:10]
	v_lshlrev_b64 v[8:9], 4, v[10:11]
	v_mov_b32_e32 v7, v19
	v_mad_u64_u32 v[32:33], null, s20, v36, 0
	v_add_co_u32 v4, s0, v39, v4
	v_add_co_ci_u32_e64 v5, s0, v42, v5, s0
	v_mov_b32_e32 v17, v6
	v_mad_u64_u32 v[6:7], null, s21, v21, v[7:8]
	v_add_co_u32 v7, s0, v39, v8
	v_add_co_ci_u32_e64 v8, s0, v42, v9, s0
	s_clause 0x1
	global_load_dwordx4 v[28:31], v[4:5], off
	global_load_dwordx4 v[24:27], v[7:8], off
	v_lshlrev_b64 v[9:10], 4, v[16:17]
	v_mad_u64_u32 v[16:17], null, s20, v56, 0
	v_mov_b32_e32 v19, v6
	v_mad_u64_u32 v[20:21], null, s20, v61, 0
	v_add_co_u32 v4, s0, v39, v9
	v_lshlrev_b64 v[7:8], 4, v[18:19]
	v_mov_b32_e32 v6, v17
	v_mad_u64_u32 v[18:19], null, s20, v58, 0
	v_add_co_ci_u32_e64 v5, s0, v42, v10, s0
	v_mad_u64_u32 v[9:10], null, s21, v56, v[6:7]
	v_add_co_u32 v6, s0, v39, v7
	v_add_co_ci_u32_e64 v7, s0, v42, v8, s0
	v_mov_b32_e32 v8, v19
	v_add_nc_u32_e32 v38, 0x798, v50
	v_add_nc_u32_e32 v40, 0x948, v50
	v_mov_b32_e32 v17, v9
	v_mad_u64_u32 v[22:23], null, s21, v58, v[8:9]
	v_mad_u64_u32 v[34:35], null, s20, v38, 0
	v_lshlrev_b64 v[16:17], 4, v[16:17]
	s_clause 0x1
	global_load_dwordx4 v[8:11], v[4:5], off
	global_load_dwordx4 v[4:7], v[6:7], off
	v_mov_b32_e32 v19, v22
	v_mad_u64_u32 v[21:22], null, s21, v61, v[21:22]
	v_mov_b32_e32 v22, v33
	v_add_co_u32 v16, s0, v39, v16
	v_lshlrev_b64 v[18:19], 4, v[18:19]
	v_add_co_ci_u32_e64 v17, s0, v42, v17, s0
	v_mad_u64_u32 v[22:23], null, s21, v36, v[22:23]
	v_mad_u64_u32 v[36:37], null, s20, v40, 0
	v_mov_b32_e32 v23, v35
	v_lshlrev_b64 v[20:21], 4, v[20:21]
	v_add_co_u32 v18, s0, v39, v18
	v_mov_b32_e32 v33, v22
	v_add_co_ci_u32_e64 v19, s0, v42, v19, s0
	v_add_co_u32 v20, s0, v39, v20
	v_lshlrev_b64 v[32:33], 4, v[32:33]
	v_add_co_ci_u32_e64 v21, s0, v42, v21, s0
	s_waitcnt vmcnt(2)
	v_mad_u64_u32 v[22:23], null, s21, v38, v[23:24]
	v_mov_b32_e32 v23, v37
	v_mad_u64_u32 v[37:38], null, s21, v40, v[23:24]
	v_mov_b32_e32 v35, v22
	v_add_co_u32 v40, s0, v39, v32
	v_add_co_ci_u32_e64 v41, s0, v42, v33, s0
	v_lshlrev_b64 v[22:23], 4, v[34:35]
	v_lshlrev_b64 v[32:33], 4, v[36:37]
	v_add_co_u32 v22, s0, v39, v22
	v_add_co_ci_u32_e64 v23, s0, v42, v23, s0
	v_add_co_u32 v62, s0, v39, v32
	v_add_co_ci_u32_e64 v63, s0, v42, v33, s0
	s_clause 0x5
	global_load_dwordx4 v[32:35], v[16:17], off
	global_load_dwordx4 v[36:39], v[18:19], off
	;; [unrolled: 1-line block ×6, first 2 shown]
.LBB0_13:
	s_or_b32 exec_lo, exec_lo, s14
	s_waitcnt vmcnt(6)
	v_add_f64 v[62:63], v[6:7], v[26:27]
	s_waitcnt vmcnt(0)
	v_add_f64 v[64:65], v[22:23], v[42:43]
	v_add_f64 v[66:67], v[4:5], v[24:25]
	;; [unrolled: 1-line block ×3, first 2 shown]
	v_add_f64 v[68:69], v[24:25], -v[4:5]
	v_add_f64 v[72:73], v[40:41], -v[20:21]
	v_add_f64 v[78:79], v[8:9], v[28:29]
	v_add_f64 v[82:83], v[24:25], v[12:13]
	v_add_f64 v[84:85], v[26:27], -v[6:7]
	v_add_f64 v[24:25], v[16:17], v[44:45]
	s_mov_b32 s8, 0xe8584caa
	s_mov_b32 s9, 0xbfebb67a
	;; [unrolled: 1-line block ×4, first 2 shown]
	v_add_f64 v[74:75], v[28:29], v[0:1]
	v_add_f64 v[76:77], v[30:31], v[2:3]
	;; [unrolled: 1-line block ×3, first 2 shown]
	v_add_f64 v[30:31], v[30:31], -v[10:11]
	v_add_f64 v[88:89], v[44:45], v[32:33]
	v_add_f64 v[90:91], v[46:47], v[34:35]
	v_add_f64 v[28:29], v[28:29], -v[8:9]
	v_add_f64 v[44:45], v[44:45], -v[16:17]
	v_fma_f64 v[62:63], v[62:63], -0.5, v[14:15]
	v_fma_f64 v[64:65], v[64:65], -0.5, v[38:39]
	;; [unrolled: 1-line block ×3, first 2 shown]
	v_add_f64 v[66:67], v[42:43], -v[22:23]
	v_fma_f64 v[70:71], v[70:71], -0.5, v[36:37]
	v_add_f64 v[14:15], v[26:27], v[14:15]
	v_add_f64 v[26:27], v[18:19], v[46:47]
	v_add_f64 v[46:47], v[46:47], -v[18:19]
	v_add_f64 v[36:37], v[40:41], v[36:37]
	v_fma_f64 v[0:1], v[78:79], -0.5, v[0:1]
	v_fma_f64 v[32:33], v[24:25], -0.5, v[32:33]
	v_add_f64 v[38:39], v[42:43], v[38:39]
	v_add_f64 v[4:5], v[4:5], v[82:83]
	v_mul_u32_u24_e32 v51, 6, v50
	v_mul_i32_i24_e32 v55, 6, v56
	v_lshl_add_u32 v25, v59, 3, 0
	v_fma_f64 v[42:43], v[80:81], -0.5, v[2:3]
	v_lshl_add_u32 v24, v54, 3, 0
	v_add_f64 v[16:17], v[16:17], v[88:89]
	v_lshl_add_u32 v51, v51, 3, 0
	s_load_dwordx2 s[4:5], s[4:5], 0x0
	v_fma_f64 v[86:87], v[68:69], s[6:7], v[62:63]
	v_fma_f64 v[62:63], v[68:69], s[8:9], v[62:63]
	;; [unrolled: 1-line block ×7, first 2 shown]
	v_fma_f64 v[92:93], v[26:27], -0.5, v[34:35]
	v_fma_f64 v[66:67], v[66:67], s[6:7], v[70:71]
	v_add_f64 v[70:71], v[8:9], v[74:75]
	v_fma_f64 v[74:75], v[30:31], s[8:9], v[0:1]
	v_fma_f64 v[0:1], v[30:31], s[6:7], v[0:1]
	;; [unrolled: 1-line block ×4, first 2 shown]
	v_add_f64 v[36:37], v[20:21], v[36:37]
	v_add_f64 v[9:10], v[10:11], v[76:77]
	;; [unrolled: 1-line block ×5, first 2 shown]
	v_fma_f64 v[88:89], v[28:29], s[6:7], v[42:43]
	v_fma_f64 v[90:91], v[28:29], s[8:9], v[42:43]
	v_and_b32_e32 v12, 0xff, v50
	v_mul_f64 v[2:3], v[86:87], s[8:9]
	v_mul_f64 v[80:81], v[62:63], s[8:9]
	;; [unrolled: 1-line block ×5, first 2 shown]
	v_mul_f64 v[32:33], v[62:63], -0.5
	v_mul_f64 v[62:63], v[72:73], s[6:7]
	v_mul_f64 v[64:65], v[64:65], -0.5
	v_mul_lo_u16 v8, 0xab, v12
	v_add_f64 v[13:14], v[4:5], v[70:71]
	v_add_f64 v[19:20], v[70:71], -v[4:5]
	v_lshl_add_u32 v26, v55, 3, 0
	v_mad_i32_i24 v27, 0xffffffd8, v50, v51
	v_lshrrev_b16 v8, 10, v8
	v_add_f64 v[28:29], v[36:37], v[16:17]
	v_mov_b32_e32 v55, 0x120
	v_add_nc_u32_e32 v5, 0x2100, v27
	v_mul_lo_u16 v11, v8, 6
	v_add_nc_u32_e32 v4, 0x3c00, v27
	v_fma_f64 v[40:41], v[40:41], 0.5, v[2:3]
	v_fma_f64 v[80:81], v[78:79], -0.5, v[80:81]
	v_fma_f64 v[72:73], v[72:73], 0.5, v[84:85]
	v_fma_f64 v[84:85], v[66:67], -0.5, v[34:35]
	v_fma_f64 v[70:71], v[86:87], 0.5, v[30:31]
	v_fma_f64 v[78:79], v[78:79], s[6:7], v[32:33]
	v_fma_f64 v[86:87], v[44:45], s[6:7], v[92:93]
	;; [unrolled: 1-line block ×3, first 2 shown]
	v_fma_f64 v[94:95], v[68:69], 0.5, v[62:63]
	v_fma_f64 v[96:97], v[66:67], s[6:7], v[64:65]
	v_add_f64 v[34:35], v[16:17], -v[36:37]
	v_add_f64 v[44:45], v[6:7], v[9:10]
	v_add_f64 v[66:67], v[21:22], v[76:77]
	v_add_f64 v[64:65], v[9:10], -v[6:7]
	v_sub_nc_u16 v7, v50, v11
	v_mov_b32_e32 v6, 5
	v_mov_b32_e32 v9, 0xaaab
	v_mad_i32_i24 v2, 0xffffffd8, v56, v26
	v_add_nc_u32_e32 v3, 0x2f00, v27
	v_mul_u32_u24_sdwa v10, v7, v6 dst_sel:DWORD dst_unused:UNUSED_PAD src0_sel:BYTE_0 src1_sel:DWORD
	v_mul_u32_u24_sdwa v9, v56, v9 dst_sel:DWORD dst_unused:UNUSED_PAD src0_sel:WORD_0 src1_sel:DWORD
	v_add_f64 v[15:16], v[74:75], v[40:41]
	v_add_f64 v[17:18], v[0:1], v[80:81]
	v_add_f64 v[36:37], v[74:75], -v[40:41]
	v_add_f64 v[38:39], v[0:1], -v[80:81]
	v_add_f64 v[30:31], v[82:83], v[72:73]
	v_add_f64 v[32:33], v[46:47], v[84:85]
	v_add_f64 v[40:41], v[82:83], -v[72:73]
	v_add_f64 v[42:43], v[46:47], -v[84:85]
	;; [unrolled: 1-line block ×3, first 2 shown]
	v_add_f64 v[46:47], v[88:89], v[70:71]
	v_add_f64 v[62:63], v[90:91], v[78:79]
	v_add_f64 v[74:75], v[88:89], -v[70:71]
	v_add_f64 v[76:77], v[90:91], -v[78:79]
	;; [unrolled: 1-line block ×4, first 2 shown]
	v_add_f64 v[68:69], v[86:87], v[94:95]
	v_add_f64 v[70:71], v[92:93], v[96:97]
	v_lshlrev_b32_e32 v11, 4, v10
	v_lshrrev_b32_e32 v9, 18, v9
	ds_write_b128 v51, v[13:16]
	ds_write_b128 v51, v[17:20] offset:16
	ds_write_b128 v51, v[36:39] offset:32
	ds_write_b128 v26, v[28:31]
	ds_write_b128 v26, v[32:35] offset:16
	ds_write_b128 v26, v[40:43] offset:32
	s_waitcnt lgkmcnt(0)
	s_barrier
	buffer_gl0_inv
	ds_read_b64 v[82:83], v25
	ds_read_b64 v[0:1], v2
	;; [unrolled: 1-line block ×3, first 2 shown]
	ds_read_b64 v[86:87], v27 offset:5184
	ds_read_b64 v[88:89], v24
	ds_read_b64 v[90:91], v27 offset:19008
	ds_read2_b64 v[13:16], v5 offset0:24 offset1:240
	ds_read2_b64 v[17:20], v3 offset0:8 offset1:224
	;; [unrolled: 1-line block ×3, first 2 shown]
	s_waitcnt lgkmcnt(0)
	s_barrier
	buffer_gl0_inv
	ds_write_b128 v51, v[44:47]
	ds_write_b128 v51, v[62:65] offset:16
	ds_write_b128 v51, v[74:77] offset:32
	ds_write_b128 v26, v[66:69]
	ds_write_b128 v26, v[70:73] offset:16
	ds_write_b128 v26, v[78:81] offset:32
	s_waitcnt lgkmcnt(0)
	s_barrier
	buffer_gl0_inv
	global_load_dwordx4 v[32:35], v11, s[12:13] offset:32
	v_mul_lo_u16 v10, v9, 6
	v_sub_nc_u16 v10, v56, v10
	v_mul_u32_u24_sdwa v21, v10, v6 dst_sel:DWORD dst_unused:UNUSED_PAD src0_sel:WORD_0 src1_sel:DWORD
	v_lshlrev_b32_e32 v23, 4, v21
	s_clause 0x3
	global_load_dwordx4 v[36:39], v23, s[12:13] offset:16
	global_load_dwordx4 v[40:43], v11, s[12:13] offset:48
	;; [unrolled: 1-line block ×3, first 2 shown]
	global_load_dwordx4 v[62:65], v11, s[12:13]
	ds_read2_b64 v[66:69], v5 offset0:24 offset1:240
	s_clause 0x1
	global_load_dwordx4 v[70:73], v23, s[12:13]
	global_load_dwordx4 v[74:77], v23, s[12:13] offset:64
	ds_read_b64 v[94:95], v27
	s_waitcnt vmcnt(6) lgkmcnt(1)
	v_mul_f64 v[21:22], v[68:69], v[34:35]
	v_mul_f64 v[34:35], v[15:16], v[34:35]
	s_waitcnt vmcnt(5)
	v_mul_f64 v[78:79], v[66:67], v[38:39]
	v_mul_f64 v[38:39], v[13:14], v[38:39]
	v_fma_f64 v[80:81], v[15:16], v[32:33], v[21:22]
	v_fma_f64 v[68:69], v[68:69], v[32:33], -v[34:35]
	ds_read2_b64 v[32:35], v3 offset0:8 offset1:224
	v_fma_f64 v[78:79], v[13:14], v[36:37], v[78:79]
	global_load_dwordx4 v[13:16], v11, s[12:13] offset:64
	v_fma_f64 v[66:67], v[66:67], v[36:37], -v[38:39]
	global_load_dwordx4 v[36:39], v11, s[12:13] offset:16
	s_waitcnt vmcnt(6) lgkmcnt(0)
	v_mul_f64 v[21:22], v[34:35], v[42:43]
	v_mul_f64 v[42:43], v[19:20], v[42:43]
	v_mov_b32_e32 v11, 0xe38f
	v_mul_u32_u24_sdwa v51, v56, v11 dst_sel:DWORD dst_unused:UNUSED_PAD src0_sel:WORD_0 src1_sel:DWORD
	v_fma_f64 v[92:93], v[19:20], v[40:41], v[21:22]
	global_load_dwordx4 v[19:22], v23, s[12:13] offset:48
	v_fma_f64 v[40:41], v[34:35], v[40:41], -v[42:43]
	s_waitcnt vmcnt(6)
	v_mul_f64 v[34:35], v[32:33], v[46:47]
	v_mul_lo_u16 v23, v12, 57
	v_fma_f64 v[42:43], v[17:18], v[44:45], v[34:35]
	v_mul_f64 v[17:18], v[17:18], v[46:47]
	ds_read_b64 v[34:35], v24
	s_waitcnt vmcnt(5)
	v_mul_f64 v[46:47], v[88:89], v[64:65]
	v_fma_f64 v[17:18], v[32:33], v[44:45], -v[17:18]
	ds_read_b64 v[44:45], v27 offset:19008
	s_waitcnt lgkmcnt(1)
	v_mul_f64 v[32:33], v[34:35], v[64:65]
	ds_read_b64 v[64:65], v27 offset:5184
	v_fma_f64 v[46:47], v[34:35], v[62:63], -v[46:47]
	v_fma_f64 v[88:89], v[88:89], v[62:63], v[32:33]
	s_waitcnt vmcnt(4) lgkmcnt(0)
	v_mul_f64 v[32:33], v[64:65], v[72:73]
	v_mul_f64 v[62:63], v[86:87], v[72:73]
	v_fma_f64 v[72:73], v[86:87], v[70:71], v[32:33]
	v_fma_f64 v[62:63], v[64:65], v[70:71], -v[62:63]
	s_waitcnt vmcnt(3)
	v_mul_f64 v[70:71], v[90:91], v[76:77]
	ds_read2_b64 v[32:35], v4 offset0:24 offset1:240
	v_mul_f64 v[64:65], v[44:45], v[76:77]
	v_fma_f64 v[44:45], v[44:45], v[74:75], -v[70:71]
	ds_read_b64 v[70:71], v25
	v_fma_f64 v[64:65], v[90:91], v[74:75], v[64:65]
	ds_read_b64 v[74:75], v2
	s_waitcnt vmcnt(0) lgkmcnt(0)
	s_barrier
	buffer_gl0_inv
	v_mul_f64 v[76:77], v[34:35], v[15:16]
	v_mul_f64 v[15:16], v[30:31], v[15:16]
	;; [unrolled: 1-line block ×3, first 2 shown]
	v_fma_f64 v[30:31], v[30:31], v[13:14], v[76:77]
	v_fma_f64 v[13:14], v[34:35], v[13:14], -v[15:16]
	v_mul_f64 v[34:35], v[82:83], v[38:39]
	v_fma_f64 v[38:39], v[82:83], v[36:37], v[86:87]
	v_mul_f64 v[15:16], v[32:33], v[21:22]
	v_mul_f64 v[21:22], v[28:29], v[21:22]
	v_add_f64 v[76:77], v[17:18], v[44:45]
	v_add_f64 v[86:87], v[42:43], -v[64:65]
	v_add_f64 v[90:91], v[68:69], -v[13:14]
	v_fma_f64 v[34:35], v[70:71], v[36:37], -v[34:35]
	v_add_f64 v[82:83], v[38:39], v[92:93]
	v_fma_f64 v[15:16], v[28:29], v[19:20], v[15:16]
	v_add_f64 v[28:29], v[68:69], v[13:14]
	v_fma_f64 v[19:20], v[32:33], v[19:20], -v[21:22]
	v_add_f64 v[21:22], v[84:85], v[38:39]
	v_add_f64 v[36:37], v[88:89], v[80:81]
	;; [unrolled: 1-line block ×3, first 2 shown]
	v_add_f64 v[32:33], v[80:81], -v[30:31]
	v_add_f64 v[80:81], v[42:43], v[64:65]
	v_fma_f64 v[76:77], v[76:77], -0.5, v[62:63]
	v_add_f64 v[42:43], v[72:73], v[42:43]
	v_add_f64 v[38:39], v[38:39], -v[92:93]
	v_add_f64 v[62:63], v[62:63], v[17:18]
	v_add_f64 v[17:18], v[17:18], -v[44:45]
	v_add_f64 v[11:12], v[34:35], -v[40:41]
	v_fma_f64 v[82:83], v[82:83], -0.5, v[84:85]
	v_add_f64 v[84:85], v[34:35], v[40:41]
	v_fma_f64 v[28:29], v[28:29], -0.5, v[46:47]
	v_add_f64 v[46:47], v[46:47], v[68:69]
	v_add_f64 v[68:69], v[78:79], v[15:16]
	;; [unrolled: 1-line block ×6, first 2 shown]
	v_fma_f64 v[70:71], v[70:71], -0.5, v[88:89]
	v_add_f64 v[88:89], v[94:95], v[34:35]
	v_fma_f64 v[72:73], v[80:81], -0.5, v[72:73]
	v_add_f64 v[42:43], v[42:43], v[64:65]
	v_add_f64 v[78:79], v[78:79], -v[15:16]
	v_add_f64 v[44:45], v[62:63], v[44:45]
	v_fma_f64 v[80:81], v[32:33], s[6:7], v[28:29]
	v_fma_f64 v[28:29], v[32:33], s[8:9], v[28:29]
	v_fma_f64 v[34:35], v[68:69], -0.5, v[0:1]
	v_add_f64 v[68:69], v[66:67], -v[19:20]
	v_fma_f64 v[32:33], v[86:87], s[6:7], v[76:77]
	v_fma_f64 v[76:77], v[86:87], s[8:9], v[76:77]
	v_lshrrev_b16 v1, 11, v23
	v_fma_f64 v[64:65], v[92:93], -0.5, v[74:75]
	v_fma_f64 v[92:93], v[11:12], s[8:9], v[82:83]
	v_fma_f64 v[82:83], v[11:12], s[6:7], v[82:83]
	v_mov_b32_e32 v11, 3
	v_mul_lo_u16 v12, v1, 36
	v_add_f64 v[66:67], v[74:75], v[66:67]
	v_add_f64 v[15:16], v[36:37], v[15:16]
	;; [unrolled: 1-line block ×3, first 2 shown]
	v_fma_f64 v[40:41], v[84:85], -0.5, v[94:95]
	v_fma_f64 v[74:75], v[90:91], s[8:9], v[70:71]
	v_fma_f64 v[70:71], v[90:91], s[6:7], v[70:71]
	v_lshrrev_b32_e32 v0, 21, v51
	v_fma_f64 v[88:89], v[17:18], s[8:9], v[72:73]
	v_fma_f64 v[17:18], v[17:18], s[6:7], v[72:73]
	v_mul_u32_u24_sdwa v23, v8, v55 dst_sel:DWORD dst_unused:UNUSED_PAD src0_sel:WORD_0 src1_sel:DWORD
	v_mul_f64 v[84:85], v[80:81], s[8:9]
	v_mul_f64 v[86:87], v[28:29], s[8:9]
	v_mul_f64 v[28:29], v[28:29], -0.5
	v_fma_f64 v[94:95], v[68:69], s[8:9], v[34:35]
	v_fma_f64 v[34:35], v[68:69], s[6:7], v[34:35]
	v_mul_f64 v[68:69], v[80:81], 0.5
	v_mul_f64 v[72:73], v[32:33], s[8:9]
	v_mul_u32_u24_e32 v51, 0x120, v9
	v_sub_nc_u16 v8, v50, v12
	v_lshlrev_b32_sdwa v12, v11, v10 dst_sel:DWORD dst_unused:UNUSED_PAD src0_sel:DWORD src1_sel:WORD_0
	v_mul_f64 v[9:10], v[32:33], 0.5
	v_mul_f64 v[90:91], v[76:77], s[8:9]
	v_mul_f64 v[32:33], v[76:77], -0.5
	v_add_f64 v[19:20], v[66:67], v[19:20]
	v_add3_u32 v51, 0, v51, v12
	v_add_f64 v[12:13], v[46:47], v[13:14]
	v_add_f64 v[46:47], v[21:22], v[30:31]
	v_add_f64 v[21:22], v[21:22], -v[30:31]
	v_add_f64 v[30:31], v[15:16], v[42:43]
	v_add_f64 v[14:15], v[15:16], -v[42:43]
	v_fma_f64 v[42:43], v[38:39], s[6:7], v[40:41]
	v_fma_f64 v[38:39], v[38:39], s[8:9], v[40:41]
	v_fma_f64 v[76:77], v[74:75], 0.5, v[84:85]
	v_fma_f64 v[80:81], v[70:71], -0.5, v[86:87]
	v_fma_f64 v[28:29], v[70:71], s[6:7], v[28:29]
	v_fma_f64 v[62:63], v[78:79], s[6:7], v[64:65]
	;; [unrolled: 1-line block ×4, first 2 shown]
	v_fma_f64 v[72:73], v[88:89], 0.5, v[72:73]
	v_lshlrev_b32_sdwa v7, v11, v7 dst_sel:DWORD dst_unused:UNUSED_PAD src0_sel:DWORD src1_sel:BYTE_0
	v_mul_lo_u16 v55, v0, 36
	v_fma_f64 v[9:10], v[88:89], s[6:7], v[9:10]
	v_fma_f64 v[84:85], v[17:18], -0.5, v[90:91]
	v_fma_f64 v[16:17], v[17:18], s[6:7], v[32:33]
	v_add3_u32 v7, 0, v23, v7
	v_mul_u32_u24_sdwa v23, v8, v6 dst_sel:DWORD dst_unused:UNUSED_PAD src0_sel:BYTE_0 src1_sel:DWORD
	v_add_f64 v[78:79], v[36:37], v[12:13]
	v_add_f64 v[36:37], v[36:37], -v[12:13]
	v_lshlrev_b32_e32 v57, 4, v23
	v_add_f64 v[32:33], v[92:93], v[76:77]
	v_add_f64 v[66:67], v[82:83], v[80:81]
	v_add_f64 v[70:71], v[82:83], -v[80:81]
	v_add_f64 v[68:69], v[92:93], -v[76:77]
	v_add_f64 v[80:81], v[19:20], v[44:45]
	v_add_f64 v[82:83], v[42:43], v[40:41]
	v_add_f64 v[40:41], v[42:43], -v[40:41]
	v_add_f64 v[42:43], v[38:39], v[28:29]
	v_add_f64 v[28:29], v[38:39], -v[28:29]
	v_add_f64 v[74:75], v[94:95], v[72:73]
	v_add_f64 v[38:39], v[62:63], v[9:10]
	;; [unrolled: 1-line block ×3, first 2 shown]
	v_add_f64 v[44:45], v[19:20], -v[44:45]
	v_add_f64 v[9:10], v[62:63], -v[9:10]
	v_add_f64 v[62:63], v[64:65], v[16:17]
	v_add_f64 v[72:73], v[94:95], -v[72:73]
	v_add_f64 v[34:35], v[34:35], -v[84:85]
	;; [unrolled: 1-line block ×3, first 2 shown]
	ds_write2_b64 v7, v[46:47], v[32:33] offset1:6
	ds_write2_b64 v7, v[66:67], v[21:22] offset0:12 offset1:18
	ds_write2_b64 v7, v[68:69], v[70:71] offset0:24 offset1:30
	ds_write2_b64 v51, v[30:31], v[74:75] offset1:6
	ds_write2_b64 v51, v[76:77], v[14:15] offset0:12 offset1:18
	ds_write2_b64 v51, v[72:73], v[34:35] offset0:24 offset1:30
	s_waitcnt lgkmcnt(0)
	s_barrier
	buffer_gl0_inv
	ds_read_b64 v[74:75], v25
	ds_read_b64 v[76:77], v2
	;; [unrolled: 1-line block ×3, first 2 shown]
	ds_read_b64 v[86:87], v27 offset:5184
	ds_read_b64 v[88:89], v24
	ds_read_b64 v[90:91], v27 offset:19008
	ds_read2_b64 v[12:15], v5 offset0:24 offset1:240
	ds_read2_b64 v[16:19], v3 offset0:8 offset1:224
	;; [unrolled: 1-line block ×3, first 2 shown]
	s_waitcnt lgkmcnt(0)
	s_barrier
	buffer_gl0_inv
	ds_write2_b64 v7, v[78:79], v[82:83] offset1:6
	ds_write2_b64 v7, v[42:43], v[36:37] offset0:12 offset1:18
	ds_write2_b64 v7, v[40:41], v[28:29] offset0:24 offset1:30
	ds_write2_b64 v51, v[80:81], v[38:39] offset1:6
	ds_write2_b64 v51, v[62:63], v[44:45] offset0:12 offset1:18
	ds_write2_b64 v51, v[9:10], v[64:65] offset0:24 offset1:30
	s_waitcnt lgkmcnt(0)
	s_barrier
	buffer_gl0_inv
	global_load_dwordx4 v[28:31], v57, s[12:13] offset:512
	v_sub_nc_u16 v51, v56, v55
	v_mul_u32_u24_e32 v93, 0x6c0, v0
	v_mul_u32_u24_sdwa v6, v51, v6 dst_sel:DWORD dst_unused:UNUSED_PAD src0_sel:WORD_0 src1_sel:DWORD
	v_lshlrev_b32_sdwa v51, v11, v51 dst_sel:DWORD dst_unused:UNUSED_PAD src0_sel:DWORD src1_sel:WORD_0
	v_lshlrev_b32_e32 v55, 4, v6
	s_clause 0x3
	global_load_dwordx4 v[32:35], v55, s[12:13] offset:496
	global_load_dwordx4 v[36:39], v57, s[12:13] offset:528
	global_load_dwordx4 v[40:43], v55, s[12:13] offset:512
	global_load_dwordx4 v[44:47], v57, s[12:13] offset:480
	ds_read2_b64 v[62:65], v5 offset0:24 offset1:240
	s_clause 0x1
	global_load_dwordx4 v[66:69], v55, s[12:13] offset:480
	global_load_dwordx4 v[70:73], v55, s[12:13] offset:544
	v_add3_u32 v51, 0, v93, v51
	s_waitcnt vmcnt(6) lgkmcnt(0)
	v_mul_f64 v[6:7], v[64:65], v[30:31]
	v_mul_f64 v[9:10], v[14:15], v[30:31]
	s_waitcnt vmcnt(5)
	v_mul_f64 v[78:79], v[62:63], v[34:35]
	v_mul_f64 v[34:35], v[12:13], v[34:35]
	v_fma_f64 v[6:7], v[14:15], v[28:29], v[6:7]
	v_fma_f64 v[9:10], v[64:65], v[28:29], -v[9:10]
	ds_read2_b64 v[28:31], v3 offset0:8 offset1:224
	v_fma_f64 v[64:65], v[12:13], v[32:33], v[78:79]
	global_load_dwordx4 v[12:15], v57, s[12:13] offset:544
	v_fma_f64 v[62:63], v[62:63], v[32:33], -v[34:35]
	global_load_dwordx4 v[32:35], v55, s[12:13] offset:528
	s_waitcnt vmcnt(6) lgkmcnt(0)
	v_mul_f64 v[78:79], v[30:31], v[38:39]
	v_mul_f64 v[38:39], v[18:19], v[38:39]
	v_fma_f64 v[78:79], v[18:19], v[36:37], v[78:79]
	v_fma_f64 v[30:31], v[30:31], v[36:37], -v[38:39]
	global_load_dwordx4 v[36:39], v57, s[12:13] offset:496
	s_waitcnt vmcnt(6)
	v_mul_f64 v[18:19], v[28:29], v[42:43]
	v_mul_u32_u24_e32 v55, 5, v50
	v_fma_f64 v[80:81], v[16:17], v[40:41], v[18:19]
	v_mul_f64 v[16:17], v[16:17], v[42:43]
	ds_read_b64 v[18:19], v24
	s_waitcnt vmcnt(5)
	v_mul_f64 v[42:43], v[88:89], v[46:47]
	v_fma_f64 v[28:29], v[28:29], v[40:41], -v[16:17]
	ds_read_b64 v[40:41], v27 offset:19008
	s_waitcnt lgkmcnt(1)
	v_mul_f64 v[16:17], v[18:19], v[46:47]
	ds_read_b64 v[46:47], v27 offset:5184
	v_fma_f64 v[42:43], v[18:19], v[44:45], -v[42:43]
	s_waitcnt vmcnt(4)
	v_mul_f64 v[18:19], v[86:87], v[68:69]
	v_fma_f64 v[82:83], v[88:89], v[44:45], v[16:17]
	ds_read_b64 v[88:89], v27
	s_waitcnt lgkmcnt(1)
	v_mul_f64 v[16:17], v[46:47], v[68:69]
	v_fma_f64 v[46:47], v[46:47], v[66:67], -v[18:19]
	s_waitcnt vmcnt(3)
	v_mul_f64 v[44:45], v[40:41], v[72:73]
	v_fma_f64 v[68:69], v[86:87], v[66:67], v[16:17]
	ds_read2_b64 v[16:19], v4 offset0:24 offset1:240
	v_mul_f64 v[66:67], v[90:91], v[72:73]
	v_fma_f64 v[44:45], v[90:91], v[70:71], v[44:45]
	v_fma_f64 v[40:41], v[40:41], v[70:71], -v[66:67]
	ds_read_b64 v[66:67], v25
	v_add_f64 v[86:87], v[80:81], -v[44:45]
	s_waitcnt vmcnt(2)
	v_mul_f64 v[72:73], v[22:23], v[14:15]
	s_waitcnt lgkmcnt(1)
	v_mul_f64 v[14:15], v[18:19], v[14:15]
	s_waitcnt vmcnt(1)
	v_mul_f64 v[70:71], v[16:17], v[34:35]
	v_fma_f64 v[18:19], v[18:19], v[12:13], -v[72:73]
	ds_read_b64 v[72:73], v2
	v_fma_f64 v[12:13], v[22:23], v[12:13], v[14:15]
	v_mul_f64 v[22:23], v[20:21], v[34:35]
	v_fma_f64 v[20:21], v[20:21], v[32:33], v[70:71]
	v_add_f64 v[70:71], v[28:29], v[40:41]
	s_waitcnt vmcnt(0) lgkmcnt(0)
	s_barrier
	buffer_gl0_inv
	v_mul_f64 v[14:15], v[66:67], v[38:39]
	v_mul_f64 v[38:39], v[74:75], v[38:39]
	v_add_f64 v[34:35], v[9:10], v[18:19]
	v_fma_f64 v[16:17], v[16:17], v[32:33], -v[22:23]
	v_add_f64 v[22:23], v[6:7], v[12:13]
	v_add_f64 v[32:33], v[6:7], -v[12:13]
	v_fma_f64 v[70:71], v[70:71], -0.5, v[46:47]
	v_add_f64 v[6:7], v[82:83], v[6:7]
	v_add_f64 v[90:91], v[64:65], v[20:21]
	v_add_f64 v[46:47], v[46:47], v[28:29]
	v_fma_f64 v[14:15], v[74:75], v[36:37], v[14:15]
	v_fma_f64 v[36:37], v[66:67], v[36:37], -v[38:39]
	v_mov_b32_e32 v38, 0x6c0
	v_add_f64 v[74:75], v[80:81], v[44:45]
	v_add_f64 v[80:81], v[68:69], v[80:81]
	v_add_f64 v[28:29], v[28:29], -v[40:41]
	v_mul_u32_u24_sdwa v57, v1, v38 dst_sel:DWORD dst_unused:UNUSED_PAD src0_sel:WORD_0 src1_sel:DWORD
	v_lshlrev_b32_e32 v1, 4, v55
	v_lshlrev_b32_sdwa v55, v11, v8 dst_sel:DWORD dst_unused:UNUSED_PAD src0_sel:DWORD src1_sel:BYTE_0
	v_fma_f64 v[34:35], v[34:35], -0.5, v[42:43]
	v_add_f64 v[42:43], v[42:43], v[9:10]
	v_add_f64 v[9:10], v[9:10], -v[18:19]
	v_add_co_u32 v60, s0, s12, v1
	v_fma_f64 v[22:23], v[22:23], -0.5, v[82:83]
	v_add_f64 v[82:83], v[76:77], v[64:65]
	v_add_f64 v[6:7], v[6:7], v[12:13]
	v_add_f64 v[64:65], v[64:65], -v[20:21]
	v_fma_f64 v[76:77], v[90:91], -0.5, v[76:77]
	v_add_f64 v[38:39], v[14:15], v[78:79]
	v_add_f64 v[66:67], v[84:85], v[14:15]
	v_add_f64 v[11:12], v[36:37], -v[30:31]
	v_fma_f64 v[68:69], v[74:75], -0.5, v[68:69]
	v_add_f64 v[13:14], v[14:15], -v[78:79]
	v_add_f64 v[44:45], v[80:81], v[44:45]
	v_add_f64 v[40:41], v[46:47], v[40:41]
	v_add_co_ci_u32_e64 v92, null, s13, 0, s0
	v_add3_u32 v55, 0, v57, v55
	v_fma_f64 v[74:75], v[32:33], s[6:7], v[34:35]
	v_fma_f64 v[32:33], v[32:33], s[8:9], v[34:35]
	;; [unrolled: 1-line block ×4, first 2 shown]
	v_add_f64 v[86:87], v[36:37], v[30:31]
	v_add_f64 v[36:37], v[88:89], v[36:37]
	;; [unrolled: 1-line block ×3, first 2 shown]
	v_fma_f64 v[82:83], v[9:10], s[8:9], v[22:23]
	v_fma_f64 v[8:9], v[9:10], s[6:7], v[22:23]
	v_add_f64 v[18:19], v[42:43], v[18:19]
	v_fma_f64 v[38:39], v[38:39], -0.5, v[84:85]
	v_add_f64 v[84:85], v[62:63], v[16:17]
	v_add_f64 v[66:67], v[66:67], v[78:79]
	v_add_f64 v[78:79], v[62:63], -v[16:17]
	v_fma_f64 v[22:23], v[28:29], s[8:9], v[68:69]
	v_fma_f64 v[28:29], v[28:29], s[6:7], v[68:69]
	v_add_f64 v[62:63], v[72:73], v[62:63]
	v_mul_f64 v[68:69], v[74:75], s[8:9]
	v_mul_f64 v[90:91], v[70:71], s[8:9]
	v_fma_f64 v[80:81], v[86:87], -0.5, v[88:89]
	v_mul_f64 v[86:87], v[32:33], s[8:9]
	v_mul_f64 v[32:33], v[32:33], -0.5
	v_mul_f64 v[88:89], v[34:35], s[8:9]
	v_mul_f64 v[34:35], v[34:35], 0.5
	v_mul_f64 v[70:71], v[70:71], -0.5
	v_add_f64 v[30:31], v[36:37], v[30:31]
	v_fma_f64 v[0:1], v[84:85], -0.5, v[72:73]
	v_fma_f64 v[72:73], v[11:12], s[8:9], v[38:39]
	v_fma_f64 v[10:11], v[11:12], s[6:7], v[38:39]
	v_mul_f64 v[38:39], v[74:75], 0.5
	v_fma_f64 v[36:37], v[78:79], s[8:9], v[76:77]
	v_fma_f64 v[76:77], v[78:79], s[6:7], v[76:77]
	v_add_f64 v[46:47], v[20:21], v[44:45]
	v_add_f64 v[20:21], v[20:21], -v[44:45]
	v_add_f64 v[15:16], v[62:63], v[16:17]
	v_add_f64 v[42:43], v[66:67], v[6:7]
	v_add_f64 v[6:7], v[66:67], -v[6:7]
	v_fma_f64 v[68:69], v[82:83], 0.5, v[68:69]
	v_add_co_u32 v74, s0, 0x800, v60
	v_fma_f64 v[78:79], v[28:29], -0.5, v[90:91]
	v_fma_f64 v[44:45], v[13:14], s[6:7], v[80:81]
	v_fma_f64 v[84:85], v[8:9], -0.5, v[86:87]
	v_fma_f64 v[12:13], v[13:14], s[8:9], v[80:81]
	v_fma_f64 v[8:9], v[8:9], s[6:7], v[32:33]
	v_fma_f64 v[86:87], v[22:23], 0.5, v[88:89]
	v_fma_f64 v[22:23], v[22:23], s[6:7], v[34:35]
	v_fma_f64 v[28:29], v[28:29], s[6:7], v[70:71]
	;; [unrolled: 1-line block ×4, first 2 shown]
	v_add_co_ci_u32_e64 v75, s0, 0, v92, s0
	v_fma_f64 v[38:39], v[82:83], s[6:7], v[38:39]
	v_add_f64 v[32:33], v[72:73], v[68:69]
	v_add_f64 v[64:65], v[72:73], -v[68:69]
	v_add_f64 v[72:73], v[30:31], v[18:19]
	v_add_f64 v[68:69], v[76:77], v[78:79]
	v_add_f64 v[70:71], v[76:77], -v[78:79]
	v_add_f64 v[34:35], v[10:11], v[84:85]
	v_add_f64 v[18:19], v[30:31], -v[18:19]
	v_add_f64 v[10:11], v[10:11], -v[84:85]
	;; [unrolled: 1-line block ×3, first 2 shown]
	v_add_f64 v[66:67], v[36:37], v[86:87]
	v_add_f64 v[30:31], v[15:16], v[40:41]
	;; [unrolled: 1-line block ×3, first 2 shown]
	v_add_f64 v[40:41], v[15:16], -v[40:41]
	v_add_f64 v[22:23], v[62:63], -v[22:23]
	v_add_f64 v[62:63], v[0:1], v[28:29]
	v_add_f64 v[76:77], v[44:45], v[38:39]
	v_add_f64 v[38:39], v[44:45], -v[38:39]
	v_add_f64 v[44:45], v[12:13], v[8:9]
	v_add_f64 v[36:37], v[36:37], -v[86:87]
	v_add_f64 v[0:1], v[0:1], -v[28:29]
	ds_write2_b64 v55, v[42:43], v[32:33] offset1:36
	ds_write2_b64 v55, v[34:35], v[6:7] offset0:72 offset1:108
	ds_write2_b64 v55, v[64:65], v[10:11] offset0:144 offset1:180
	ds_write2_b64 v51, v[46:47], v[66:67] offset1:36
	ds_write2_b64 v51, v[68:69], v[20:21] offset0:72 offset1:108
	ds_write2_b64 v51, v[36:37], v[70:71] offset0:144 offset1:180
	s_waitcnt lgkmcnt(0)
	s_barrier
	buffer_gl0_inv
	ds_read_b64 v[66:67], v25
	ds_read_b64 v[68:69], v2
	;; [unrolled: 1-line block ×3, first 2 shown]
	ds_read_b64 v[64:65], v27 offset:5184
	ds_read_b64 v[82:83], v24
	ds_read_b64 v[84:85], v27 offset:19008
	ds_read2_b64 v[6:9], v5 offset0:24 offset1:240
	ds_read2_b64 v[10:13], v3 offset0:8 offset1:224
	;; [unrolled: 1-line block ×3, first 2 shown]
	s_waitcnt lgkmcnt(0)
	s_barrier
	buffer_gl0_inv
	ds_write2_b64 v55, v[72:73], v[76:77] offset1:36
	ds_write2_b64 v55, v[44:45], v[18:19] offset0:72 offset1:108
	ds_write2_b64 v55, v[38:39], v[78:79] offset0:144 offset1:180
	ds_write2_b64 v51, v[30:31], v[80:81] offset1:36
	ds_write2_b64 v51, v[62:63], v[40:41] offset0:72 offset1:108
	ds_write2_b64 v51, v[22:23], v[0:1] offset0:144 offset1:180
	s_waitcnt lgkmcnt(0)
	s_barrier
	buffer_gl0_inv
	global_load_dwordx4 v[18:21], v[74:75], off offset:1312
	v_add_co_u32 v0, s0, 0xd20, v60
	v_add_co_ci_u32_e64 v1, s0, 0, v92, s0
	s_clause 0x3
	global_load_dwordx4 v[28:31], v[0:1], off offset:16
	global_load_dwordx4 v[32:35], v[0:1], off offset:32
	;; [unrolled: 1-line block ×4, first 2 shown]
	ds_read_b64 v[0:1], v24
	ds_read_b64 v[72:73], v27 offset:5184
	ds_read2_b64 v[44:47], v5 offset0:24 offset1:240
	ds_read_b64 v[74:75], v27 offset:19008
	ds_read_b64 v[76:77], v27
	v_add_nc_u32_e32 v51, 0xd00, v27
	v_add_nc_u32_e32 v55, 0x1a00, v27
	s_waitcnt vmcnt(4) lgkmcnt(4)
	v_mul_f64 v[62:63], v[0:1], v[20:21]
	v_mul_f64 v[78:79], v[82:83], v[20:21]
	s_waitcnt lgkmcnt(3)
	v_mul_f64 v[80:81], v[72:73], v[20:21]
	v_mul_f64 v[86:87], v[64:65], v[20:21]
	ds_read2_b64 v[20:23], v4 offset0:24 offset1:240
	s_waitcnt vmcnt(3) lgkmcnt(3)
	v_mul_f64 v[88:89], v[44:45], v[30:31]
	v_mul_f64 v[4:5], v[6:7], v[30:31]
	s_waitcnt vmcnt(2)
	v_mul_f64 v[92:93], v[8:9], v[34:35]
	v_mul_f64 v[90:91], v[46:47], v[34:35]
	v_fma_f64 v[82:83], v[82:83], v[18:19], v[62:63]
	v_fma_f64 v[0:1], v[0:1], v[18:19], -v[78:79]
	v_fma_f64 v[78:79], v[64:65], v[18:19], v[80:81]
	v_fma_f64 v[18:19], v[72:73], v[18:19], -v[86:87]
	s_waitcnt vmcnt(1)
	v_mul_f64 v[72:73], v[16:17], v[38:39]
	ds_read2_b64 v[62:65], v3 offset0:8 offset1:224
	v_mul_f64 v[80:81], v[84:85], v[38:39]
	v_mul_f64 v[86:87], v[10:11], v[34:35]
	v_fma_f64 v[6:7], v[6:7], v[28:29], v[88:89]
	s_waitcnt lgkmcnt(3)
	v_mul_f64 v[88:89], v[74:75], v[38:39]
	s_waitcnt lgkmcnt(1)
	v_mul_f64 v[38:39], v[22:23], v[38:39]
	v_fma_f64 v[3:4], v[44:45], v[28:29], -v[4:5]
	v_fma_f64 v[44:45], v[46:47], v[32:33], -v[92:93]
	ds_read_b64 v[46:47], v25
	v_fma_f64 v[8:9], v[8:9], v[32:33], v[90:91]
	s_waitcnt lgkmcnt(1)
	v_mul_f64 v[34:35], v[62:63], v[34:35]
	v_fma_f64 v[22:23], v[22:23], v[36:37], -v[72:73]
	v_fma_f64 v[72:73], v[74:75], v[36:37], -v[80:81]
	s_waitcnt vmcnt(0)
	v_mul_f64 v[74:75], v[64:65], v[42:43]
	v_fma_f64 v[62:63], v[62:63], v[32:33], -v[86:87]
	v_fma_f64 v[80:81], v[84:85], v[36:37], v[88:89]
	ds_read_b64 v[84:85], v2
	v_fma_f64 v[16:17], v[16:17], v[36:37], v[38:39]
	s_waitcnt lgkmcnt(1)
	v_mul_f64 v[36:37], v[46:47], v[30:31]
	v_mul_f64 v[38:39], v[20:21], v[42:43]
	;; [unrolled: 1-line block ×3, first 2 shown]
	s_waitcnt lgkmcnt(0)
	s_barrier
	buffer_gl0_inv
	v_fma_f64 v[10:11], v[10:11], v[32:33], v[34:35]
	v_add_f64 v[32:33], v[44:45], v[22:23]
	v_fma_f64 v[34:35], v[12:13], v[40:41], v[74:75]
	v_add_f64 v[74:75], v[62:63], v[72:73]
	v_mul_f64 v[12:13], v[12:13], v[42:43]
	v_mul_f64 v[42:43], v[14:15], v[42:43]
	v_fma_f64 v[36:37], v[66:67], v[28:29], v[36:37]
	v_fma_f64 v[14:15], v[14:15], v[40:41], v[38:39]
	v_add_f64 v[38:39], v[8:9], v[16:17]
	v_add_f64 v[66:67], v[8:9], -v[16:17]
	v_fma_f64 v[30:31], v[46:47], v[28:29], -v[30:31]
	v_add_f64 v[8:9], v[82:83], v[8:9]
	v_lshl_add_u32 v28, v58, 3, 0
	v_lshl_add_u32 v29, v61, 3, 0
	v_add_f64 v[46:47], v[10:11], v[80:81]
	v_fma_f64 v[32:33], v[32:33], -0.5, v[0:1]
	v_add_f64 v[86:87], v[10:11], -v[80:81]
	v_add_f64 v[10:11], v[78:79], v[10:11]
	v_add_f64 v[0:1], v[0:1], v[44:45]
	v_fma_f64 v[74:75], v[74:75], -0.5, v[18:19]
	v_fma_f64 v[12:13], v[64:65], v[40:41], -v[12:13]
	v_fma_f64 v[20:21], v[20:21], v[40:41], -v[42:43]
	v_add_f64 v[64:65], v[44:45], -v[22:23]
	v_add_f64 v[40:41], v[36:37], v[34:35]
	v_add_f64 v[42:43], v[70:71], v[36:37]
	v_fma_f64 v[38:39], v[38:39], -0.5, v[82:83]
	v_add_f64 v[88:89], v[6:7], v[14:15]
	v_add_f64 v[82:83], v[62:63], -v[72:73]
	v_add_f64 v[36:37], v[36:37], -v[34:35]
	v_add_f64 v[18:19], v[18:19], v[62:63]
	v_add_f64 v[8:9], v[8:9], v[16:17]
	;; [unrolled: 1-line block ×3, first 2 shown]
	v_fma_f64 v[46:47], v[46:47], -0.5, v[78:79]
	v_fma_f64 v[90:91], v[66:67], s[6:7], v[32:33]
	v_fma_f64 v[32:33], v[66:67], s[8:9], v[32:33]
	v_add_f64 v[78:79], v[68:69], v[6:7]
	v_add_f64 v[10:11], v[10:11], v[80:81]
	v_fma_f64 v[66:67], v[86:87], s[6:7], v[74:75]
	v_fma_f64 v[74:75], v[86:87], s[8:9], v[74:75]
	v_add_f64 v[86:87], v[30:31], -v[12:13]
	v_add_f64 v[44:45], v[30:31], v[12:13]
	v_add_f64 v[62:63], v[3:4], v[20:21]
	v_fma_f64 v[16:17], v[40:41], -0.5, v[70:71]
	v_add_f64 v[34:35], v[42:43], v[34:35]
	v_fma_f64 v[42:43], v[64:65], s[8:9], v[38:39]
	v_fma_f64 v[38:39], v[64:65], s[6:7], v[38:39]
	v_fma_f64 v[40:41], v[88:89], -0.5, v[68:69]
	v_add_f64 v[92:93], v[3:4], -v[20:21]
	v_add_f64 v[3:4], v[84:85], v[3:4]
	v_add_f64 v[5:6], v[6:7], -v[14:15]
	v_add_f64 v[12:13], v[94:95], v[12:13]
	v_add_f64 v[0:1], v[0:1], v[22:23]
	;; [unrolled: 1-line block ×3, first 2 shown]
	v_add_nc_u32_e32 v31, 0x2800, v27
	v_fma_f64 v[70:71], v[82:83], s[8:9], v[46:47]
	v_mul_f64 v[64:65], v[90:91], s[8:9]
	v_mul_f64 v[68:69], v[32:33], s[8:9]
	v_fma_f64 v[46:47], v[82:83], s[6:7], v[46:47]
	v_add_f64 v[14:15], v[78:79], v[14:15]
	v_mul_f64 v[82:83], v[66:67], s[8:9]
	v_mul_f64 v[88:89], v[74:75], s[8:9]
	v_mul_f64 v[32:33], v[32:33], -0.5
	v_fma_f64 v[44:45], v[44:45], -0.5, v[76:77]
	v_fma_f64 v[62:63], v[62:63], -0.5, v[84:85]
	v_fma_f64 v[76:77], v[86:87], s[8:9], v[16:17]
	v_mul_f64 v[78:79], v[90:91], 0.5
	v_mul_f64 v[66:67], v[66:67], 0.5
	v_mul_f64 v[74:75], v[74:75], -0.5
	v_fma_f64 v[16:17], v[86:87], s[6:7], v[16:17]
	v_fma_f64 v[80:81], v[92:93], s[8:9], v[40:41]
	;; [unrolled: 1-line block ×3, first 2 shown]
	v_add_f64 v[3:4], v[3:4], v[20:21]
	v_add_f64 v[20:21], v[34:35], v[8:9]
	v_add_f64 v[7:8], v[34:35], -v[8:9]
	v_add_nc_u32_e32 v30, 0x3600, v27
	v_fma_f64 v[64:65], v[42:43], 0.5, v[64:65]
	v_fma_f64 v[68:69], v[38:39], -0.5, v[68:69]
	v_add_f64 v[22:23], v[14:15], v[10:11]
	v_fma_f64 v[82:83], v[70:71], 0.5, v[82:83]
	v_fma_f64 v[84:85], v[46:47], -0.5, v[88:89]
	v_add_f64 v[9:10], v[14:15], -v[10:11]
	v_fma_f64 v[14:15], v[36:37], s[8:9], v[44:45]
	v_fma_f64 v[34:35], v[36:37], s[6:7], v[44:45]
	;; [unrolled: 1-line block ×8, first 2 shown]
	v_add_nc_u32_e32 v32, 0x4300, v27
	v_add_f64 v[74:75], v[12:13], -v[0:1]
	v_add_f64 v[78:79], v[3:4], v[18:19]
	v_add_f64 v[62:63], v[76:77], v[64:65]
	v_add_f64 v[66:67], v[16:17], v[68:69]
	v_add_f64 v[64:65], v[76:77], -v[64:65]
	v_add_f64 v[16:17], v[16:17], -v[68:69]
	v_add_f64 v[68:69], v[80:81], v[82:83]
	v_add_f64 v[70:71], v[40:41], v[84:85]
	v_add_f64 v[72:73], v[80:81], -v[82:83]
	v_add_f64 v[40:41], v[40:41], -v[84:85]
	v_add_f64 v[76:77], v[12:13], v[0:1]
	v_add_f64 v[80:81], v[3:4], -v[18:19]
	v_add_f64 v[82:83], v[14:15], v[36:37]
	v_add_f64 v[36:37], v[14:15], -v[36:37]
	v_add_f64 v[84:85], v[34:35], -v[42:43]
	v_add_f64 v[33:34], v[34:35], v[42:43]
	v_add_f64 v[42:43], v[38:39], v[44:45]
	v_add_f64 v[38:39], v[38:39], -v[44:45]
	v_add_f64 v[44:45], v[5:6], v[46:47]
	v_add_f64 v[46:47], v[5:6], -v[46:47]
	ds_write2_b64 v27, v[20:21], v[62:63] offset1:216
	ds_write2_b64 v51, v[66:67], v[7:8] offset0:16 offset1:232
	ds_write2_b64 v55, v[64:65], v[16:17] offset0:32 offset1:248
	;; [unrolled: 1-line block ×3, first 2 shown]
	ds_write2_b64 v30, v[70:71], v[9:10] offset1:216
	ds_write2_b64 v32, v[72:73], v[40:41] offset0:16 offset1:232
	s_waitcnt lgkmcnt(0)
	s_barrier
	buffer_gl0_inv
	ds_read_b64 v[20:21], v27
	ds_read_b64 v[18:19], v24
	ds_read_b64 v[14:15], v28
	ds_read_b64 v[12:13], v25
	ds_read_b64 v[22:23], v2
	ds_read_b64 v[16:17], v29
	ds_read2_b64 v[4:7], v31 offset0:16 offset1:232
	ds_read2_b64 v[0:3], v30 offset1:216
	ds_read2_b64 v[8:11], v32 offset0:16 offset1:232
	s_waitcnt lgkmcnt(0)
	s_barrier
	buffer_gl0_inv
	ds_write2_b64 v51, v[82:83], v[74:75] offset0:16 offset1:232
	ds_write2_b64 v55, v[84:85], v[36:37] offset0:32 offset1:248
	ds_write2_b64 v27, v[76:77], v[33:34] offset1:216
	ds_write2_b64 v31, v[78:79], v[42:43] offset0:16 offset1:232
	ds_write2_b64 v30, v[44:45], v[80:81] offset1:216
	ds_write2_b64 v32, v[38:39], v[46:47] offset0:16 offset1:232
	s_waitcnt lgkmcnt(0)
	s_barrier
	buffer_gl0_inv
	s_and_saveexec_b32 s0, vcc_lo
	s_cbranch_execz .LBB0_15
; %bb.14:
	v_mov_b32_e32 v62, 0
	v_mul_i32_i24_e32 v85, 0xffffffd8, v56
	v_add_nc_u32_e32 v75, 0x360, v50
	v_add_nc_u32_e32 v76, 0x438, v50
	v_mov_b32_e32 v60, v62
	v_lshlrev_b64 v[33:34], 4, v[61:62]
	v_mov_b32_e32 v57, v62
	v_mov_b32_e32 v51, v62
	;; [unrolled: 1-line block ×3, first 2 shown]
	v_lshlrev_b64 v[35:36], 4, v[59:60]
	v_mov_b32_e32 v59, v62
	v_add_co_u32 v33, vcc_lo, s12, v33
	v_add_co_ci_u32_e32 v34, vcc_lo, s13, v34, vcc_lo
	v_add_co_u32 v35, vcc_lo, s12, v35
	v_add_co_ci_u32_e32 v36, vcc_lo, s13, v36, vcc_lo
	;; [unrolled: 2-line block ×4, first 2 shown]
	s_clause 0x1
	global_load_dwordx4 v[33:36], v[33:34], off offset:160
	global_load_dwordx4 v[37:40], v[37:38], off offset:160
	v_lshlrev_b64 v[41:42], 4, v[56:57]
	v_lshlrev_b64 v[45:46], 4, v[50:51]
	;; [unrolled: 1-line block ×3, first 2 shown]
	v_add_nc_u32_e32 v56, 0xd8, v50
	v_add_nc_u32_e32 v61, 0x1b0, v50
	;; [unrolled: 1-line block ×3, first 2 shown]
	v_add_co_u32 v41, vcc_lo, s12, v41
	v_add_co_ci_u32_e32 v42, vcc_lo, s13, v42, vcc_lo
	v_mul_hi_u32 v77, 0xca4587e7, v56
	v_add_co_u32 v41, vcc_lo, 0x5000, v41
	v_add_co_ci_u32_e32 v42, vcc_lo, 0, v42, vcc_lo
	v_add_co_u32 v45, vcc_lo, s12, v45
	v_add_co_ci_u32_e32 v46, vcc_lo, s13, v46, vcc_lo
	global_load_dwordx4 v[41:44], v[41:42], off offset:160
	v_add_co_u32 v45, vcc_lo, 0x5000, v45
	v_add_co_ci_u32_e32 v46, vcc_lo, 0, v46, vcc_lo
	v_mul_hi_u32 v78, 0xca4587e7, v61
	v_lshrrev_b32_e32 v77, 10, v77
	v_mul_hi_u32 v79, 0xca4587e7, v62
	global_load_dwordx4 v[63:66], v[45:46], off offset:160
	v_lshlrev_b64 v[45:46], 4, v[58:59]
	v_lshrrev_b32_e32 v78, 10, v78
	v_add_co_u32 v45, vcc_lo, s12, v45
	v_add_co_ci_u32_e32 v46, vcc_lo, s13, v46, vcc_lo
	v_add_co_u32 v47, vcc_lo, s12, v54
	v_add_co_ci_u32_e32 v51, vcc_lo, s13, v55, vcc_lo
	;; [unrolled: 2-line block ×4, first 2 shown]
	s_clause 0x1
	global_load_dwordx4 v[57:60], v[45:46], off offset:160
	global_load_dwordx4 v[67:70], v[54:55], off offset:160
	v_mul_lo_u32 v47, s5, v52
	v_mul_lo_u32 v55, s4, v53
	v_mad_u64_u32 v[45:46], null, s4, v52, 0
	ds_read2_b64 v[51:54], v32 offset0:16 offset1:232
	ds_read2_b64 v[71:74], v31 offset0:16 offset1:232
	v_mul_hi_u32 v31, 0xca4587e7, v50
	v_lshrrev_b32_e32 v79, 10, v79
	v_add3_u32 v46, v46, v55, v47
	v_mul_hi_u32 v47, 0xca4587e7, v75
	v_mul_hi_u32 v55, 0xca4587e7, v76
	v_lshrrev_b32_e32 v80, 10, v31
	v_lshlrev_b64 v[31:32], 4, v[48:49]
	v_mul_u32_u24_e32 v49, 0x510, v79
	v_lshlrev_b64 v[45:46], 4, v[45:46]
	v_mul_u32_u24_e32 v48, 0x510, v80
	v_lshrrev_b32_e32 v80, 10, v47
	v_mul_u32_u24_e32 v47, 0x510, v77
	v_sub_nc_u32_e32 v62, v62, v49
	v_lshrrev_b32_e32 v55, 10, v55
	v_sub_nc_u32_e32 v81, v50, v48
	v_mul_u32_u24_e32 v48, 0x510, v78
	v_sub_nc_u32_e32 v56, v56, v47
	v_mul_u32_u24_e32 v50, 0x510, v80
	v_add_co_u32 v83, vcc_lo, s10, v45
	v_sub_nc_u32_e32 v61, v61, v48
	v_mul_u32_u24_e32 v82, 0x510, v55
	v_sub_nc_u32_e32 v75, v75, v50
	v_add_co_ci_u32_e32 v84, vcc_lo, s11, v46, vcc_lo
	v_add_nc_u32_e32 v86, 0x510, v81
	v_add_co_u32 v93, vcc_lo, v83, v31
	v_mad_u32_u24 v83, 0xa20, v79, v62
	v_sub_nc_u32_e32 v76, v76, v82
	v_mad_u32_u24 v77, 0xa20, v77, v56
	v_add_co_ci_u32_e32 v94, vcc_lo, v84, v32, vcc_lo
	v_mad_u64_u32 v[31:32], null, s2, v86, 0
	v_mad_u32_u24 v82, 0xa20, v78, v61
	v_mad_u32_u24 v84, 0xa20, v80, v75
	;; [unrolled: 1-line block ×3, first 2 shown]
	v_mad_u64_u32 v[55:56], null, s2, v77, 0
	v_add_nc_u32_e32 v80, 0x510, v77
	v_mad_u64_u32 v[45:46], null, s2, v81, 0
	v_mad_u64_u32 v[61:62], null, s2, v82, 0
	v_add_nc_u32_e32 v88, 0x510, v82
	v_add_nc_u32_e32 v89, 0x510, v83
	v_mad_u64_u32 v[75:76], null, s2, v89, 0
	s_waitcnt vmcnt(5)
	v_mul_f64 v[47:48], v[10:11], v[35:36]
	s_waitcnt lgkmcnt(1)
	v_mul_f64 v[35:36], v[53:54], v[35:36]
	s_waitcnt vmcnt(4)
	v_mul_f64 v[49:50], v[8:9], v[39:40]
	v_mul_f64 v[39:40], v[51:52], v[39:40]
	v_fma_f64 v[47:48], v[53:54], v[33:34], -v[47:48]
	v_fma_f64 v[10:11], v[10:11], v[33:34], v[35:36]
	v_fma_f64 v[35:36], v[51:52], v[37:38], -v[49:50]
	v_mad_u64_u32 v[33:34], null, s2, v83, 0
	v_fma_f64 v[37:38], v[8:9], v[37:38], v[39:40]
	v_mad_u64_u32 v[39:40], null, s2, v80, 0
	v_mad_u64_u32 v[49:50], null, s2, v84, 0
	v_mad_u64_u32 v[8:9], null, s3, v86, v[32:33]
	v_mov_b32_e32 v9, v56
	v_mov_b32_e32 v32, v62
	v_mad_u64_u32 v[51:52], null, s3, v81, v[46:47]
	v_mad_u64_u32 v[52:53], null, s2, v88, 0
	v_mad_u64_u32 v[77:78], null, s3, v77, v[9:10]
	v_mov_b32_e32 v9, v40
	v_mad_u64_u32 v[78:79], null, s3, v82, v[32:33]
	v_mov_b32_e32 v32, v8
	v_mov_b32_e32 v8, v53
	v_mad_u64_u32 v[79:80], null, s3, v80, v[9:10]
	v_mov_b32_e32 v9, v76
	v_mad_u64_u32 v[53:54], null, s3, v83, v[34:35]
	v_mov_b32_e32 v46, v51
	v_mov_b32_e32 v56, v77
	v_mad_u64_u32 v[80:81], null, s3, v88, v[8:9]
	v_mad_u64_u32 v[81:82], null, s2, v87, 0
	;; [unrolled: 1-line block ×3, first 2 shown]
	v_mov_b32_e32 v9, v50
	v_mov_b32_e32 v34, v53
	s_waitcnt vmcnt(3)
	v_mul_f64 v[53:54], v[6:7], v[43:44]
	s_waitcnt lgkmcnt(0)
	v_mul_f64 v[43:44], v[73:74], v[43:44]
	v_mov_b32_e32 v62, v78
	v_mad_u64_u32 v[50:51], null, s3, v84, v[9:10]
	v_mov_b32_e32 v9, v82
	v_lshlrev_b64 v[45:46], 4, v[45:46]
	v_add_nc_u32_e32 v51, 0x510, v87
	v_mov_b32_e32 v40, v79
	v_lshlrev_b64 v[61:62], 4, v[61:62]
	v_mad_u64_u32 v[76:77], null, s3, v87, v[9:10]
	v_add_nc_u32_e32 v9, 0x510, v84
	v_add_co_u32 v83, vcc_lo, v93, v45
	v_add_co_ci_u32_e32 v84, vcc_lo, v94, v46, vcc_lo
	v_mad_u64_u32 v[77:78], null, s2, v9, 0
	v_mov_b32_e32 v82, v76
	v_mov_b32_e32 v76, v8
	v_lshlrev_b64 v[33:34], 4, v[33:34]
	v_fma_f64 v[73:74], v[73:74], v[41:42], -v[53:54]
	v_fma_f64 v[41:42], v[6:7], v[41:42], v[43:44]
	s_waitcnt vmcnt(2)
	v_mul_f64 v[43:44], v[4:5], v[65:66]
	v_mov_b32_e32 v6, v78
	v_mul_f64 v[65:66], v[71:72], v[65:66]
	v_mov_b32_e32 v53, v80
	v_mad_u64_u32 v[79:80], null, s2, v51, 0
	v_mad_u64_u32 v[45:46], null, s3, v9, v[6:7]
	ds_read2_b64 v[6:9], v30 offset1:216
	v_add_nc_u32_e32 v46, v26, v85
	ds_read_b64 v[85:86], v29
	v_lshlrev_b64 v[49:50], 4, v[49:50]
	v_mov_b32_e32 v26, v80
	v_lshlrev_b64 v[39:40], 4, v[39:40]
	v_mov_b32_e32 v78, v45
	v_lshlrev_b64 v[75:76], 4, v[75:76]
	v_lshlrev_b64 v[77:78], 4, v[77:78]
	v_fma_f64 v[29:30], v[71:72], v[63:64], -v[43:44]
	ds_read_b64 v[71:72], v28
	ds_read_b64 v[87:88], v25
	;; [unrolled: 1-line block ×4, first 2 shown]
	v_mad_u64_u32 v[24:25], null, s3, v51, v[26:27]
	v_lshlrev_b64 v[25:26], 4, v[31:32]
	v_lshlrev_b64 v[27:28], 4, v[55:56]
	v_fma_f64 v[4:5], v[4:5], v[63:64], v[65:66]
	s_waitcnt vmcnt(1)
	v_mul_f64 v[31:32], v[2:3], v[59:60]
	s_waitcnt vmcnt(0)
	v_mul_f64 v[54:55], v[0:1], v[69:70]
	s_waitcnt lgkmcnt(5)
	v_mul_f64 v[63:64], v[6:7], v[69:70]
	v_mul_f64 v[59:60], v[8:9], v[59:60]
	ds_read_b64 v[45:46], v46
	v_lshlrev_b64 v[51:52], 4, v[52:53]
	v_add_co_u32 v69, vcc_lo, v93, v25
	v_add_co_ci_u32_e32 v70, vcc_lo, v94, v26, vcc_lo
	v_lshlrev_b64 v[65:66], 4, v[81:82]
	v_add_co_u32 v81, vcc_lo, v93, v27
	v_add_co_ci_u32_e32 v82, vcc_lo, v94, v28, vcc_lo
	v_mov_b32_e32 v80, v24
	v_add_f64 v[24:25], v[22:23], -v[41:42]
	v_lshlrev_b64 v[79:80], 4, v[79:80]
	v_fma_f64 v[91:92], v[8:9], v[57:58], -v[31:32]
	v_fma_f64 v[31:32], v[6:7], v[67:68], -v[54:55]
	v_fma_f64 v[53:54], v[0:1], v[67:68], v[63:64]
	v_fma_f64 v[55:56], v[2:3], v[57:58], v[59:60]
	v_add_f64 v[0:1], v[16:17], -v[10:11]
	s_waitcnt lgkmcnt(1)
	v_add_f64 v[10:11], v[43:44], -v[29:30]
	v_add_f64 v[8:9], v[20:21], -v[4:5]
	v_add_co_u32 v57, vcc_lo, v93, v61
	s_waitcnt lgkmcnt(0)
	v_add_f64 v[26:27], v[45:46], -v[73:74]
	v_add_co_ci_u32_e32 v58, vcc_lo, v94, v62, vcc_lo
	v_add_co_u32 v59, vcc_lo, v93, v33
	v_add_co_ci_u32_e32 v60, vcc_lo, v94, v34, vcc_lo
	v_add_f64 v[6:7], v[87:88], -v[35:36]
	v_add_f64 v[4:5], v[12:13], -v[37:38]
	v_add_f64 v[2:3], v[85:86], -v[47:48]
	v_add_co_u32 v61, vcc_lo, v93, v49
	v_add_co_ci_u32_e32 v62, vcc_lo, v94, v50, vcc_lo
	v_add_f64 v[30:31], v[89:90], -v[31:32]
	v_add_f64 v[28:29], v[18:19], -v[53:54]
	;; [unrolled: 1-line block ×4, first 2 shown]
	v_add_co_u32 v53, vcc_lo, v93, v65
	v_add_co_ci_u32_e32 v54, vcc_lo, v94, v66, vcc_lo
	v_add_co_u32 v55, vcc_lo, v93, v39
	v_add_co_ci_u32_e32 v56, vcc_lo, v94, v40, vcc_lo
	v_fma_f64 v[42:43], v[43:44], 2.0, -v[10:11]
	v_fma_f64 v[40:41], v[20:21], 2.0, -v[8:9]
	;; [unrolled: 1-line block ×4, first 2 shown]
	v_add_co_u32 v63, vcc_lo, v93, v51
	v_fma_f64 v[12:13], v[12:13], 2.0, -v[4:5]
	v_fma_f64 v[38:39], v[85:86], 2.0, -v[2:3]
	;; [unrolled: 1-line block ×3, first 2 shown]
	v_add_co_ci_u32_e32 v64, vcc_lo, v94, v52, vcc_lo
	v_fma_f64 v[20:21], v[89:90], 2.0, -v[30:31]
	v_fma_f64 v[18:19], v[18:19], 2.0, -v[28:29]
	;; [unrolled: 1-line block ×5, first 2 shown]
	v_add_co_u32 v16, vcc_lo, v93, v75
	v_add_co_ci_u32_e32 v17, vcc_lo, v94, v76, vcc_lo
	v_add_co_u32 v22, vcc_lo, v93, v77
	v_add_co_ci_u32_e32 v23, vcc_lo, v94, v78, vcc_lo
	;; [unrolled: 2-line block ×3, first 2 shown]
	global_store_dwordx4 v[83:84], v[40:43], off
	global_store_dwordx4 v[69:70], v[8:11], off
	global_store_dwordx4 v[81:82], v[44:47], off
	global_store_dwordx4 v[55:56], v[24:27], off
	global_store_dwordx4 v[57:58], v[18:21], off
	global_store_dwordx4 v[63:64], v[28:31], off
	global_store_dwordx4 v[59:60], v[48:51], off
	global_store_dwordx4 v[16:17], v[32:35], off
	global_store_dwordx4 v[61:62], v[12:15], off
	global_store_dwordx4 v[22:23], v[4:7], off
	global_store_dwordx4 v[53:54], v[36:39], off
	global_store_dwordx4 v[65:66], v[0:3], off
.LBB0_15:
	s_endpgm
	.section	.rodata,"a",@progbits
	.p2align	6, 0x0
	.amdhsa_kernel fft_rtc_back_len2592_factors_6_6_6_6_2_wgs_216_tpt_216_halfLds_dp_op_CI_CI_sbrr_dirReg
		.amdhsa_group_segment_fixed_size 0
		.amdhsa_private_segment_fixed_size 0
		.amdhsa_kernarg_size 104
		.amdhsa_user_sgpr_count 6
		.amdhsa_user_sgpr_private_segment_buffer 1
		.amdhsa_user_sgpr_dispatch_ptr 0
		.amdhsa_user_sgpr_queue_ptr 0
		.amdhsa_user_sgpr_kernarg_segment_ptr 1
		.amdhsa_user_sgpr_dispatch_id 0
		.amdhsa_user_sgpr_flat_scratch_init 0
		.amdhsa_user_sgpr_private_segment_size 0
		.amdhsa_wavefront_size32 1
		.amdhsa_uses_dynamic_stack 0
		.amdhsa_system_sgpr_private_segment_wavefront_offset 0
		.amdhsa_system_sgpr_workgroup_id_x 1
		.amdhsa_system_sgpr_workgroup_id_y 0
		.amdhsa_system_sgpr_workgroup_id_z 0
		.amdhsa_system_sgpr_workgroup_info 0
		.amdhsa_system_vgpr_workitem_id 0
		.amdhsa_next_free_vgpr 98
		.amdhsa_next_free_sgpr 31
		.amdhsa_reserve_vcc 1
		.amdhsa_reserve_flat_scratch 0
		.amdhsa_float_round_mode_32 0
		.amdhsa_float_round_mode_16_64 0
		.amdhsa_float_denorm_mode_32 3
		.amdhsa_float_denorm_mode_16_64 3
		.amdhsa_dx10_clamp 1
		.amdhsa_ieee_mode 1
		.amdhsa_fp16_overflow 0
		.amdhsa_workgroup_processor_mode 1
		.amdhsa_memory_ordered 1
		.amdhsa_forward_progress 0
		.amdhsa_shared_vgpr_count 0
		.amdhsa_exception_fp_ieee_invalid_op 0
		.amdhsa_exception_fp_denorm_src 0
		.amdhsa_exception_fp_ieee_div_zero 0
		.amdhsa_exception_fp_ieee_overflow 0
		.amdhsa_exception_fp_ieee_underflow 0
		.amdhsa_exception_fp_ieee_inexact 0
		.amdhsa_exception_int_div_zero 0
	.end_amdhsa_kernel
	.text
.Lfunc_end0:
	.size	fft_rtc_back_len2592_factors_6_6_6_6_2_wgs_216_tpt_216_halfLds_dp_op_CI_CI_sbrr_dirReg, .Lfunc_end0-fft_rtc_back_len2592_factors_6_6_6_6_2_wgs_216_tpt_216_halfLds_dp_op_CI_CI_sbrr_dirReg
                                        ; -- End function
	.section	.AMDGPU.csdata,"",@progbits
; Kernel info:
; codeLenInByte = 10000
; NumSgprs: 33
; NumVgprs: 98
; ScratchSize: 0
; MemoryBound: 1
; FloatMode: 240
; IeeeMode: 1
; LDSByteSize: 0 bytes/workgroup (compile time only)
; SGPRBlocks: 4
; VGPRBlocks: 12
; NumSGPRsForWavesPerEU: 33
; NumVGPRsForWavesPerEU: 98
; Occupancy: 9
; WaveLimiterHint : 1
; COMPUTE_PGM_RSRC2:SCRATCH_EN: 0
; COMPUTE_PGM_RSRC2:USER_SGPR: 6
; COMPUTE_PGM_RSRC2:TRAP_HANDLER: 0
; COMPUTE_PGM_RSRC2:TGID_X_EN: 1
; COMPUTE_PGM_RSRC2:TGID_Y_EN: 0
; COMPUTE_PGM_RSRC2:TGID_Z_EN: 0
; COMPUTE_PGM_RSRC2:TIDIG_COMP_CNT: 0
	.text
	.p2alignl 6, 3214868480
	.fill 48, 4, 3214868480
	.type	__hip_cuid_12b75092afab74df,@object ; @__hip_cuid_12b75092afab74df
	.section	.bss,"aw",@nobits
	.globl	__hip_cuid_12b75092afab74df
__hip_cuid_12b75092afab74df:
	.byte	0                               ; 0x0
	.size	__hip_cuid_12b75092afab74df, 1

	.ident	"AMD clang version 19.0.0git (https://github.com/RadeonOpenCompute/llvm-project roc-6.4.0 25133 c7fe45cf4b819c5991fe208aaa96edf142730f1d)"
	.section	".note.GNU-stack","",@progbits
	.addrsig
	.addrsig_sym __hip_cuid_12b75092afab74df
	.amdgpu_metadata
---
amdhsa.kernels:
  - .args:
      - .actual_access:  read_only
        .address_space:  global
        .offset:         0
        .size:           8
        .value_kind:     global_buffer
      - .offset:         8
        .size:           8
        .value_kind:     by_value
      - .actual_access:  read_only
        .address_space:  global
        .offset:         16
        .size:           8
        .value_kind:     global_buffer
      - .actual_access:  read_only
        .address_space:  global
        .offset:         24
        .size:           8
        .value_kind:     global_buffer
      - .actual_access:  read_only
        .address_space:  global
        .offset:         32
        .size:           8
        .value_kind:     global_buffer
      - .offset:         40
        .size:           8
        .value_kind:     by_value
      - .actual_access:  read_only
        .address_space:  global
        .offset:         48
        .size:           8
        .value_kind:     global_buffer
      - .actual_access:  read_only
        .address_space:  global
        .offset:         56
        .size:           8
        .value_kind:     global_buffer
      - .offset:         64
        .size:           4
        .value_kind:     by_value
      - .actual_access:  read_only
        .address_space:  global
        .offset:         72
        .size:           8
        .value_kind:     global_buffer
      - .actual_access:  read_only
        .address_space:  global
        .offset:         80
        .size:           8
        .value_kind:     global_buffer
      - .actual_access:  read_only
        .address_space:  global
        .offset:         88
        .size:           8
        .value_kind:     global_buffer
      - .actual_access:  write_only
        .address_space:  global
        .offset:         96
        .size:           8
        .value_kind:     global_buffer
    .group_segment_fixed_size: 0
    .kernarg_segment_align: 8
    .kernarg_segment_size: 104
    .language:       OpenCL C
    .language_version:
      - 2
      - 0
    .max_flat_workgroup_size: 216
    .name:           fft_rtc_back_len2592_factors_6_6_6_6_2_wgs_216_tpt_216_halfLds_dp_op_CI_CI_sbrr_dirReg
    .private_segment_fixed_size: 0
    .sgpr_count:     33
    .sgpr_spill_count: 0
    .symbol:         fft_rtc_back_len2592_factors_6_6_6_6_2_wgs_216_tpt_216_halfLds_dp_op_CI_CI_sbrr_dirReg.kd
    .uniform_work_group_size: 1
    .uses_dynamic_stack: false
    .vgpr_count:     98
    .vgpr_spill_count: 0
    .wavefront_size: 32
    .workgroup_processor_mode: 1
amdhsa.target:   amdgcn-amd-amdhsa--gfx1030
amdhsa.version:
  - 1
  - 2
...

	.end_amdgpu_metadata
